;; amdgpu-corpus repo=zjin-lcf/HeCBench kind=compiled arch=gfx1250 opt=O3
	.amdgcn_target "amdgcn-amd-amdhsa--gfx1250"
	.amdhsa_code_object_version 6
	.text
	.protected	_Z15accuracy_kerneliiiPKfPKiPi ; -- Begin function _Z15accuracy_kerneliiiPKfPKiPi
	.globl	_Z15accuracy_kerneliiiPKfPKiPi
	.p2align	8
	.type	_Z15accuracy_kerneliiiPKfPKiPi,@function
_Z15accuracy_kerneliiiPKfPKiPi:         ; @_Z15accuracy_kerneliiiPKfPKiPi
; %bb.0:
	s_load_b96 s[12:14], s[0:1], 0x0
	s_bfe_u32 s2, ttmp6, 0x4000c
	s_and_b32 s3, ttmp6, 15
	s_add_co_i32 s2, s2, 1
	s_getreg_b32 s4, hwreg(HW_REG_IB_STS2, 6, 4)
	s_mul_i32 s2, ttmp9, s2
	v_mov_b32_e32 v1, 0
	s_add_co_i32 s3, s3, s2
	s_cmp_eq_u32 s4, 0
	s_cselect_b32 s6, ttmp9, s3
	s_wait_kmcnt 0x0
	s_cmp_ge_i32 s6, s12
	s_cbranch_scc1 .LBB0_15
; %bb.1:
	v_mbcnt_lo_u32_b32 v7, -1, 0
	s_clause 0x1
	s_load_b128 s[8:11], s[0:1], 0x10
	s_load_b32 s15, s[0:1], 0x28
	v_dual_mov_b32 v2, 0x7c :: v_dual_lshrrev_b32 v3, 3, v0
	s_add_nc_u64 s[16:17], s[0:1], 40
	v_dual_mov_b32 v1, 0 :: v_dual_bitop2_b32 v4, 7, v7 bitop3:0x40
	v_cmp_eq_u32_e64 s2, 0, v7
	s_delay_alu instid0(VALU_DEP_3) | instskip(SKIP_3) | instid1(VALU_DEP_2)
	v_and_b32_e32 v3, 0x7c, v3
	s_mul_i32 s18, s6, s13
	v_cmp_ne_u32_e64 s3, 7, v4
	v_cmp_gt_i32_e32 vcc_lo, s13, v0
	v_add_co_ci_u32_e64 v5, null, 0, v7, s3
	v_cmp_gt_u32_e64 s3, 6, v4
	s_delay_alu instid0(VALU_DEP_2) | instskip(SKIP_4) | instid1(VALU_DEP_2)
	v_dual_lshlrev_b32 v4, 2, v4 :: v_dual_lshlrev_b32 v5, 2, v5
	s_wait_kmcnt 0x0
	s_mul_i32 s19, s15, s13
	v_cndmask_b32_e64 v6, 0, 2, s3
	v_cmp_gt_u32_e64 s3, 32, v0
	v_add_lshl_u32 v6, v6, v7, 2
	v_lshl_or_b32 v7, v7, 2, 16
	s_branch .LBB0_3
.LBB0_2:                                ;   in Loop: Header=BB0_3 Depth=1
	s_or_b32 exec_lo, exec_lo, s4
	s_delay_alu instid0(VALU_DEP_1)
	v_cmp_ge_i32_e64 s4, s14, v8
	s_add_co_i32 s6, s15, s6
	s_add_co_i32 s18, s18, s19
	s_cmp_ge_i32 s6, s12
	v_add_co_ci_u32_e64 v1, null, 0, v1, s4
	s_barrier_signal -1
	s_barrier_wait -1
	s_cbranch_scc1 .LBB0_15
.LBB0_3:                                ; =>This Loop Header: Depth=1
                                        ;     Child Loop BB0_6 Depth 2
	v_mov_b32_e32 v8, 0
	s_and_saveexec_b32 s20, vcc_lo
	s_cbranch_execz .LBB0_11
; %bb.4:                                ;   in Loop: Header=BB0_3 Depth=1
	s_ashr_i32 s7, s6, 31
	s_load_b32 s22, s[16:17], 0xc
	s_lshl_b64 s[4:5], s[6:7], 2
	v_dual_mov_b32 v8, 0 :: v_dual_mov_b32 v9, v0
	s_add_nc_u64 s[4:5], s[10:11], s[4:5]
	s_load_b32 s7, s[4:5], 0x0
	s_wait_xcnt 0x0
	s_mul_i32 s4, s6, s13
	s_wait_kmcnt 0x0
	s_and_b32 s23, s22, 0xffff
	s_mov_b32 s22, 0
	s_add_co_i32 s4, s7, s4
	s_delay_alu instid0(SALU_CYCLE_1) | instskip(NEXT) | instid1(SALU_CYCLE_1)
	s_ashr_i32 s5, s4, 31
	s_lshl_b64 s[4:5], s[4:5], 2
	s_delay_alu instid0(SALU_CYCLE_1)
	s_add_nc_u64 s[4:5], s[8:9], s[4:5]
	s_load_b32 s21, s[4:5], 0x0
	s_branch .LBB0_6
.LBB0_5:                                ;   in Loop: Header=BB0_6 Depth=2
	s_or_b32 exec_lo, exec_lo, s4
	v_add_nc_u32_e32 v9, s23, v9
	s_delay_alu instid0(VALU_DEP_1) | instskip(SKIP_1) | instid1(SALU_CYCLE_1)
	v_cmp_le_i32_e64 s4, s13, v9
	s_or_b32 s22, s4, s22
	s_and_not1_b32 exec_lo, exec_lo, s22
	s_cbranch_execz .LBB0_10
.LBB0_6:                                ;   Parent Loop BB0_3 Depth=1
                                        ; =>  This Inner Loop Header: Depth=2
	v_add_nc_u32_e32 v10, s18, v9
	s_mov_b32 s25, exec_lo
	global_load_b32 v10, v10, s[8:9] scale_offset
	s_wait_loadcnt 0x0
	s_wait_kmcnt 0x0
	v_cmp_lt_f32_e64 s24, s21, v10
	v_cmpx_nlt_f32_e32 s21, v10
; %bb.7:                                ;   in Loop: Header=BB0_6 Depth=2
	v_cmp_eq_f32_e64 s4, s21, v10
	v_cmp_ge_i32_e64 s5, s7, v9
	s_and_b32 s4, s5, s4
	s_and_not1_b32 s5, s24, exec_lo
	s_and_b32 s4, s4, exec_lo
	s_delay_alu instid0(SALU_CYCLE_1)
	s_or_b32 s24, s5, s4
; %bb.8:                                ;   in Loop: Header=BB0_6 Depth=2
	s_or_b32 exec_lo, exec_lo, s25
	s_and_saveexec_b32 s4, s24
	s_cbranch_execz .LBB0_5
; %bb.9:                                ;   in Loop: Header=BB0_6 Depth=2
	v_add_nc_u32_e32 v8, 1, v8
	s_branch .LBB0_5
.LBB0_10:                               ;   in Loop: Header=BB0_3 Depth=1
	s_or_b32 exec_lo, exec_lo, s22
.LBB0_11:                               ;   in Loop: Header=BB0_3 Depth=1
	s_delay_alu instid0(SALU_CYCLE_1) | instskip(NEXT) | instid1(VALU_DEP_1)
	s_or_b32 exec_lo, exec_lo, s20
	v_mov_b32_dpp v9, v8 quad_perm:[1,0,3,2] row_mask:0xf bank_mask:0xf
	s_delay_alu instid0(VALU_DEP_1) | instskip(NEXT) | instid1(VALU_DEP_1)
	v_add_nc_u32_e32 v8, v9, v8
	v_mov_b32_dpp v9, v8 quad_perm:[2,3,0,1] row_mask:0xf bank_mask:0xf
	s_delay_alu instid0(VALU_DEP_1) | instskip(NEXT) | instid1(VALU_DEP_1)
	v_add_nc_u32_e32 v8, v8, v9
	v_mov_b32_dpp v9, v8 row_ror:4 row_mask:0xf bank_mask:0xf
	s_delay_alu instid0(VALU_DEP_1) | instskip(NEXT) | instid1(VALU_DEP_1)
	v_add_nc_u32_e32 v8, v8, v9
	v_mov_b32_dpp v9, v8 row_ror:8 row_mask:0xf bank_mask:0xf
	s_delay_alu instid0(VALU_DEP_1)
	v_add_nc_u32_e32 v8, v8, v9
	ds_swizzle_b32 v9, v8 offset:swizzle(BROADCAST,32,15)
	s_wait_dscnt 0x0
	v_add_nc_u32_e32 v8, v8, v9
	ds_bpermute_b32 v8, v2, v8
	s_and_saveexec_b32 s4, s2
	s_cbranch_execz .LBB0_13
; %bb.12:                               ;   in Loop: Header=BB0_3 Depth=1
	s_wait_dscnt 0x0
	ds_store_b32 v3, v8
.LBB0_13:                               ;   in Loop: Header=BB0_3 Depth=1
	s_or_b32 exec_lo, exec_lo, s4
	s_wait_dscnt 0x0
	s_barrier_signal -1
	s_barrier_wait -1
	s_and_saveexec_b32 s4, s3
	s_cbranch_execz .LBB0_2
; %bb.14:                               ;   in Loop: Header=BB0_3 Depth=1
	ds_load_b32 v8, v4
	s_wait_dscnt 0x0
	ds_bpermute_b32 v9, v5, v8
	s_wait_dscnt 0x0
	v_add_nc_u32_e32 v8, v9, v8
	ds_bpermute_b32 v9, v6, v8
	s_wait_dscnt 0x0
	v_add_nc_u32_e32 v8, v9, v8
	;; [unrolled: 3-line block ×3, first 2 shown]
	s_branch .LBB0_2
.LBB0_15:
	s_mov_b32 s2, 0
	s_mov_b32 s3, exec_lo
	v_cmpx_eq_u32_e32 0, v0
	s_cbranch_execz .LBB0_20
; %bb.16:
	s_mov_b32 s3, exec_lo
.LBB0_17:                               ; =>This Inner Loop Header: Depth=1
	s_delay_alu instid0(SALU_CYCLE_1) | instskip(NEXT) | instid1(SALU_CYCLE_1)
	s_ctz_i32_b32 s4, s3
	v_readlane_b32 s5, v1, s4
	s_lshl_b32 s4, 1, s4
	s_delay_alu instid0(SALU_CYCLE_1)
	s_and_not1_b32 s3, s3, s4
	s_add_co_i32 s2, s2, s5
	s_cmp_lg_u32 s3, 0
	s_cbranch_scc1 .LBB0_17
; %bb.18:
	v_mbcnt_lo_u32_b32 v0, exec_lo, 0
	s_mov_b32 s3, exec_lo
	s_delay_alu instid0(VALU_DEP_1)
	v_cmpx_eq_u32_e32 0, v0
	s_xor_b32 s3, exec_lo, s3
	s_cbranch_execz .LBB0_20
; %bb.19:
	s_load_b64 s[0:1], s[0:1], 0x20
	v_dual_mov_b32 v0, 0 :: v_dual_mov_b32 v1, s2
	s_wait_xcnt 0x0
	s_wait_kmcnt 0x0
	global_atomic_add_u32 v0, v1, s[0:1] scope:SCOPE_DEV
.LBB0_20:
	s_endpgm
	.section	.rodata,"a",@progbits
	.p2align	6, 0x0
	.amdhsa_kernel _Z15accuracy_kerneliiiPKfPKiPi
		.amdhsa_group_segment_fixed_size 32
		.amdhsa_private_segment_fixed_size 0
		.amdhsa_kernarg_size 296
		.amdhsa_user_sgpr_count 2
		.amdhsa_user_sgpr_dispatch_ptr 0
		.amdhsa_user_sgpr_queue_ptr 0
		.amdhsa_user_sgpr_kernarg_segment_ptr 1
		.amdhsa_user_sgpr_dispatch_id 0
		.amdhsa_user_sgpr_kernarg_preload_length 0
		.amdhsa_user_sgpr_kernarg_preload_offset 0
		.amdhsa_user_sgpr_private_segment_size 0
		.amdhsa_wavefront_size32 1
		.amdhsa_uses_dynamic_stack 0
		.amdhsa_enable_private_segment 0
		.amdhsa_system_sgpr_workgroup_id_x 1
		.amdhsa_system_sgpr_workgroup_id_y 0
		.amdhsa_system_sgpr_workgroup_id_z 0
		.amdhsa_system_sgpr_workgroup_info 0
		.amdhsa_system_vgpr_workitem_id 0
		.amdhsa_next_free_vgpr 11
		.amdhsa_next_free_sgpr 26
		.amdhsa_named_barrier_count 0
		.amdhsa_reserve_vcc 1
		.amdhsa_float_round_mode_32 0
		.amdhsa_float_round_mode_16_64 0
		.amdhsa_float_denorm_mode_32 3
		.amdhsa_float_denorm_mode_16_64 3
		.amdhsa_fp16_overflow 0
		.amdhsa_memory_ordered 1
		.amdhsa_forward_progress 1
		.amdhsa_inst_pref_size 7
		.amdhsa_round_robin_scheduling 0
		.amdhsa_exception_fp_ieee_invalid_op 0
		.amdhsa_exception_fp_denorm_src 0
		.amdhsa_exception_fp_ieee_div_zero 0
		.amdhsa_exception_fp_ieee_overflow 0
		.amdhsa_exception_fp_ieee_underflow 0
		.amdhsa_exception_fp_ieee_inexact 0
		.amdhsa_exception_int_div_zero 0
	.end_amdhsa_kernel
	.text
.Lfunc_end0:
	.size	_Z15accuracy_kerneliiiPKfPKiPi, .Lfunc_end0-_Z15accuracy_kerneliiiPKfPKiPi
                                        ; -- End function
	.set _Z15accuracy_kerneliiiPKfPKiPi.num_vgpr, 11
	.set _Z15accuracy_kerneliiiPKfPKiPi.num_agpr, 0
	.set _Z15accuracy_kerneliiiPKfPKiPi.numbered_sgpr, 26
	.set _Z15accuracy_kerneliiiPKfPKiPi.num_named_barrier, 0
	.set _Z15accuracy_kerneliiiPKfPKiPi.private_seg_size, 0
	.set _Z15accuracy_kerneliiiPKfPKiPi.uses_vcc, 1
	.set _Z15accuracy_kerneliiiPKfPKiPi.uses_flat_scratch, 0
	.set _Z15accuracy_kerneliiiPKfPKiPi.has_dyn_sized_stack, 0
	.set _Z15accuracy_kerneliiiPKfPKiPi.has_recursion, 0
	.set _Z15accuracy_kerneliiiPKfPKiPi.has_indirect_call, 0
	.section	.AMDGPU.csdata,"",@progbits
; Kernel info:
; codeLenInByte = 848
; TotalNumSgprs: 28
; NumVgprs: 11
; ScratchSize: 0
; MemoryBound: 0
; FloatMode: 240
; IeeeMode: 1
; LDSByteSize: 32 bytes/workgroup (compile time only)
; SGPRBlocks: 0
; VGPRBlocks: 0
; NumSGPRsForWavesPerEU: 28
; NumVGPRsForWavesPerEU: 11
; NamedBarCnt: 0
; Occupancy: 16
; WaveLimiterHint : 1
; COMPUTE_PGM_RSRC2:SCRATCH_EN: 0
; COMPUTE_PGM_RSRC2:USER_SGPR: 2
; COMPUTE_PGM_RSRC2:TRAP_HANDLER: 0
; COMPUTE_PGM_RSRC2:TGID_X_EN: 1
; COMPUTE_PGM_RSRC2:TGID_Y_EN: 0
; COMPUTE_PGM_RSRC2:TGID_Z_EN: 0
; COMPUTE_PGM_RSRC2:TIDIG_COMP_CNT: 0
	.text
	.protected	_Z16accuracy_kernel2iiiPKfPKiPi ; -- Begin function _Z16accuracy_kernel2iiiPKfPKiPi
	.globl	_Z16accuracy_kernel2iiiPKfPKiPi
	.p2align	8
	.type	_Z16accuracy_kernel2iiiPKfPKiPi,@function
_Z16accuracy_kernel2iiiPKfPKiPi:        ; @_Z16accuracy_kernel2iiiPKfPKiPi
; %bb.0:
	s_load_b96 s[16:18], s[0:1], 0x0
	s_bfe_u32 s2, ttmp6, 0x4000c
	s_and_b32 s3, ttmp6, 15
	s_add_co_i32 s2, s2, 1
	s_getreg_b32 s4, hwreg(HW_REG_IB_STS2, 6, 4)
	s_mul_i32 s2, ttmp9, s2
	v_mov_b32_e32 v1, 0
	s_add_co_i32 s3, s3, s2
	s_cmp_eq_u32 s4, 0
	v_cmp_eq_u32_e32 vcc_lo, 0, v0
	s_cselect_b32 s10, ttmp9, s3
	s_wait_kmcnt 0x0
	s_cmp_ge_i32 s10, s16
	s_cbranch_scc1 .LBB1_29
; %bb.1:
	s_clause 0x2
	s_load_b32 s5, s[0:1], 0x34
	s_load_b128 s[12:15], s[0:1], 0x10
	s_load_b32 s9, s[0:1], 0x28
	v_mbcnt_lo_u32_b32 v1, -1, 0
	v_dual_mov_b32 v3, 0 :: v_dual_lshrrev_b32 v2, 3, v0
	v_cmp_ne_u32_e64 s2, 0, v0
	v_cmp_gt_u32_e64 s3, 32, v0
	s_delay_alu instid0(VALU_DEP_4) | instskip(SKIP_4) | instid1(SALU_CYCLE_1)
	v_cmp_eq_u32_e64 s4, 0, v1
	v_lshl_or_b32 v16, v1, 2, 16
	v_and_b32_e32 v15, 0x7c, v2
	s_wait_kmcnt 0x0
	s_and_b32 s19, s5, 0xffff
	s_mul_i32 s20, s19, 3
	s_delay_alu instid0(SALU_CYCLE_1) | instskip(SKIP_2) | instid1(VALU_DEP_2)
	v_dual_add_nc_u32 v6, s20, v0 :: v_dual_bitop2_b32 v4, 7, v1 bitop3:0x40
	v_mov_b32_e32 v14, 0x7c
	s_lshl_b32 s21, s19, 1
	v_cmp_ne_u32_e64 s5, 7, v4
	v_lshlrev_b32_e32 v17, 2, v4
	s_delay_alu instid0(VALU_DEP_2) | instskip(SKIP_1) | instid1(VALU_DEP_2)
	v_add_co_ci_u32_e64 v2, null, 0, v1, s5
	v_cmp_gt_u32_e64 s5, 6, v4
	v_lshlrev_b32_e32 v18, 2, v2
	s_delay_alu instid0(VALU_DEP_2) | instskip(SKIP_1) | instid1(VALU_DEP_2)
	v_cndmask_b32_e64 v5, 0, 2, s5
	v_cmp_gt_u32_e64 s5, s17, v6
	v_add_lshl_u32 v19, v5, v1, 2
	v_mov_b32_e32 v1, 0
	s_branch .LBB1_3
.LBB1_2:                                ;   in Loop: Header=BB1_3 Depth=1
	s_or_b32 exec_lo, exec_lo, s6
	s_delay_alu instid0(VALU_DEP_1)
	v_cmp_ge_i32_e64 s6, s18, v2
	s_add_co_i32 s10, s9, s10
	s_barrier_signal -1
	s_barrier_wait -1
	s_and_b32 s6, vcc_lo, s6
	s_cmp_ge_i32 s10, s16
	v_cndmask_b32_e64 v2, 0, 1, s6
	s_delay_alu instid0(VALU_DEP_1)
	v_add_nc_u32_e32 v1, v1, v2
	s_cbranch_scc1 .LBB1_29
.LBB1_3:                                ; =>This Loop Header: Depth=1
                                        ;     Child Loop BB1_9 Depth 2
                                        ;     Child Loop BB1_23 Depth 2
	s_mul_i32 s6, s10, s17
	s_and_saveexec_b32 s7, s2
	s_delay_alu instid0(SALU_CYCLE_1) | instskip(NEXT) | instid1(SALU_CYCLE_1)
	s_xor_b32 s7, exec_lo, s7
	s_or_saveexec_b32 s7, s7
	v_mov_b32_e32 v6, s6
	s_xor_b32 exec_lo, exec_lo, s7
	s_cbranch_execz .LBB1_5
; %bb.4:                                ;   in Loop: Header=BB1_3 Depth=1
	s_ashr_i32 s11, s10, 31
	v_mov_b32_e32 v6, s6
	s_lshl_b64 s[22:23], s[10:11], 2
	s_delay_alu instid0(SALU_CYCLE_1)
	s_add_nc_u64 s[22:23], s[14:15], s[22:23]
	s_load_b32 s8, s[22:23], 0x0
	s_wait_kmcnt 0x0
	s_add_co_i32 s22, s8, s6
	v_mov_b32_e32 v5, s8
	s_ashr_i32 s23, s22, 31
	s_delay_alu instid0(SALU_CYCLE_1) | instskip(NEXT) | instid1(SALU_CYCLE_1)
	s_lshl_b64 s[22:23], s[22:23], 2
	s_add_nc_u64 s[22:23], s[12:13], s[22:23]
	s_load_b32 s11, s[22:23], 0x0
	s_wait_kmcnt 0x0
	v_mov_b32_e32 v4, s11
	ds_store_b64 v3, v[4:5] offset:32
.LBB1_5:                                ;   in Loop: Header=BB1_3 Depth=1
	s_or_b32 exec_lo, exec_lo, s7
	s_delay_alu instid0(VALU_DEP_1)
	v_dual_mov_b32 v20, 0 :: v_dual_ashrrev_i32 v7, 31, v6
	s_wait_dscnt 0x0
	s_barrier_signal -1
	s_barrier_wait -1
	ds_load_b64 v[4:5], v20 offset:32
	v_lshl_add_u64 v[6:7], v[6:7], 2, s[12:13]
	v_mov_b32_e32 v8, v0
	s_and_saveexec_b32 s11, s5
	s_cbranch_execz .LBB1_21
; %bb.6:                                ;   in Loop: Header=BB1_3 Depth=1
	v_dual_mov_b32 v20, 0 :: v_dual_mov_b32 v8, v0
	s_mov_b32 s22, 0
	s_branch .LBB1_9
.LBB1_7:                                ;   in Loop: Header=BB1_9 Depth=2
	s_or_b32 exec_lo, exec_lo, s8
.LBB1_8:                                ;   in Loop: Header=BB1_9 Depth=2
	s_delay_alu instid0(SALU_CYCLE_1)
	s_or_b32 exec_lo, exec_lo, s7
	v_cmp_eq_f32_e64 s6, v9, v4
	v_cmp_le_i32_e64 s7, v8, v5
	v_add3_u32 v8, s21, s19, v2
	v_cmp_gt_f32_e64 s8, v9, v4
	s_and_b32 s6, s6, s7
	v_add_nc_u32_e32 v2, s20, v8
	s_or_b32 s6, s8, s6
	s_delay_alu instid0(SALU_CYCLE_1) | instskip(NEXT) | instid1(VALU_DEP_2)
	v_add_co_ci_u32_e64 v9, null, v13, v20, s6
	v_cmp_le_u32_e64 s6, s17, v2
	s_delay_alu instid0(VALU_DEP_2) | instskip(SKIP_1) | instid1(SALU_CYCLE_1)
	v_add3_u32 v20, v9, v11, v12
	s_or_b32 s22, s6, s22
	s_and_not1_b32 exec_lo, exec_lo, s22
	s_cbranch_execz .LBB1_20
.LBB1_9:                                ;   Parent Loop BB1_3 Depth=1
                                        ; =>  This Inner Loop Header: Depth=2
	s_delay_alu instid0(VALU_DEP_1) | instskip(SKIP_2) | instid1(VALU_DEP_3)
	v_dual_add_nc_u32 v2, s19, v8 :: v_dual_ashrrev_i32 v9, 31, v8
	v_dual_add_nc_u32 v10, s20, v8 :: v_dual_add_nc_u32 v12, s21, v8
	v_dual_mov_b32 v13, v3 :: v_dual_mov_b32 v11, v3
	v_lshl_add_u64 v[22:23], v[2:3], 2, v[6:7]
	s_delay_alu instid0(VALU_DEP_4) | instskip(SKIP_1) | instid1(VALU_DEP_3)
	v_lshl_add_u64 v[24:25], v[8:9], 2, v[6:7]
	s_mov_b32 s7, exec_lo
	v_lshl_add_u64 v[26:27], v[12:13], 2, v[6:7]
	v_lshl_add_u64 v[28:29], v[10:11], 2, v[6:7]
	s_clause 0x3
	global_load_b32 v23, v[22:23], off
	global_load_b32 v9, v[24:25], off
	;; [unrolled: 1-line block ×4, first 2 shown]
	v_dual_mov_b32 v11, 1 :: v_dual_mov_b32 v13, 1
	s_wait_loadcnt_dscnt 0x300
	s_wait_xcnt 0x0
	v_cmpx_ngt_f32_e32 v23, v4
	s_cbranch_execz .LBB1_13
; %bb.10:                               ;   in Loop: Header=BB1_9 Depth=2
	v_mov_b32_e32 v13, 0
	s_mov_b32 s8, exec_lo
	v_cmpx_eq_f32_e32 v23, v4
; %bb.11:                               ;   in Loop: Header=BB1_9 Depth=2
	v_cmp_le_u32_e64 s6, v2, v5
	s_delay_alu instid0(VALU_DEP_1)
	v_cndmask_b32_e64 v13, 0, 1, s6
; %bb.12:                               ;   in Loop: Header=BB1_9 Depth=2
	s_or_b32 exec_lo, exec_lo, s8
.LBB1_13:                               ;   in Loop: Header=BB1_9 Depth=2
	s_delay_alu instid0(SALU_CYCLE_1) | instskip(NEXT) | instid1(SALU_CYCLE_1)
	s_or_b32 exec_lo, exec_lo, s7
	s_mov_b32 s7, exec_lo
	s_wait_loadcnt 0x1
	v_cmpx_ngt_f32_e32 v22, v4
	s_cbranch_execz .LBB1_17
; %bb.14:                               ;   in Loop: Header=BB1_9 Depth=2
	v_mov_b32_e32 v11, 0
	s_mov_b32 s8, exec_lo
	v_cmpx_eq_f32_e32 v22, v4
; %bb.15:                               ;   in Loop: Header=BB1_9 Depth=2
	v_cmp_le_u32_e64 s6, v12, v5
	s_delay_alu instid0(VALU_DEP_1)
	v_cndmask_b32_e64 v11, 0, 1, s6
; %bb.16:                               ;   in Loop: Header=BB1_9 Depth=2
	s_or_b32 exec_lo, exec_lo, s8
.LBB1_17:                               ;   in Loop: Header=BB1_9 Depth=2
	s_delay_alu instid0(SALU_CYCLE_1)
	s_or_b32 exec_lo, exec_lo, s7
	v_mov_b32_e32 v12, 1
	s_mov_b32 s7, exec_lo
	s_wait_loadcnt 0x0
	v_cmpx_ngt_f32_e32 v21, v4
	s_cbranch_execz .LBB1_8
; %bb.18:                               ;   in Loop: Header=BB1_9 Depth=2
	v_mov_b32_e32 v12, 0
	s_mov_b32 s8, exec_lo
	v_cmpx_eq_f32_e32 v21, v4
	s_cbranch_execz .LBB1_7
; %bb.19:                               ;   in Loop: Header=BB1_9 Depth=2
	v_cmp_le_u32_e64 s6, v10, v5
	s_delay_alu instid0(VALU_DEP_1)
	v_cndmask_b32_e64 v12, 0, 1, s6
	s_branch .LBB1_7
.LBB1_20:                               ;   in Loop: Header=BB1_3 Depth=1
	s_or_b32 exec_lo, exec_lo, s22
.LBB1_21:                               ;   in Loop: Header=BB1_3 Depth=1
	s_delay_alu instid0(SALU_CYCLE_1) | instskip(NEXT) | instid1(SALU_CYCLE_1)
	s_or_b32 exec_lo, exec_lo, s11
	s_mov_b32 s11, exec_lo
	v_cmpx_gt_i32_e64 s17, v8
	s_cbranch_execz .LBB1_25
; %bb.22:                               ;   in Loop: Header=BB1_3 Depth=1
	s_mov_b32 s22, 0
.LBB1_23:                               ;   Parent Loop BB1_3 Depth=1
                                        ; =>  This Inner Loop Header: Depth=2
	v_ashrrev_i32_e32 v9, 31, v8
	s_wait_dscnt 0x0
	v_cmp_le_i32_e64 s6, v8, v5
	s_delay_alu instid0(VALU_DEP_2)
	v_lshl_add_u64 v[10:11], v[8:9], 2, v[6:7]
	v_add_nc_u32_e32 v8, s19, v8
	global_load_b32 v2, v[10:11], off
	s_wait_loadcnt 0x0
	v_cmp_eq_f32_e64 s7, v2, v4
	v_cmp_gt_f32_e64 s8, v2, v4
	s_and_b32 s7, s7, s6
	v_cmp_le_i32_e64 s6, s17, v8
	s_or_b32 s7, s8, s7
	s_delay_alu instid0(SALU_CYCLE_1) | instskip(SKIP_1) | instid1(SALU_CYCLE_1)
	v_add_co_ci_u32_e64 v20, null, 0, v20, s7
	s_or_b32 s22, s6, s22
	s_and_not1_b32 exec_lo, exec_lo, s22
	s_cbranch_execnz .LBB1_23
; %bb.24:                               ;   in Loop: Header=BB1_3 Depth=1
	s_or_b32 exec_lo, exec_lo, s22
.LBB1_25:                               ;   in Loop: Header=BB1_3 Depth=1
	s_delay_alu instid0(SALU_CYCLE_1) | instskip(SKIP_1) | instid1(VALU_DEP_1)
	s_or_b32 exec_lo, exec_lo, s11
	v_mov_b32_dpp v2, v20 quad_perm:[1,0,3,2] row_mask:0xf bank_mask:0xf
	v_add_nc_u32_e32 v2, v2, v20
	s_wait_dscnt 0x0
	s_delay_alu instid0(VALU_DEP_1) | instskip(NEXT) | instid1(VALU_DEP_1)
	v_mov_b32_dpp v4, v2 quad_perm:[2,3,0,1] row_mask:0xf bank_mask:0xf
	v_add_nc_u32_e32 v2, v2, v4
	s_delay_alu instid0(VALU_DEP_1) | instskip(NEXT) | instid1(VALU_DEP_1)
	v_mov_b32_dpp v4, v2 row_ror:4 row_mask:0xf bank_mask:0xf
	v_add_nc_u32_e32 v2, v2, v4
	s_delay_alu instid0(VALU_DEP_1) | instskip(NEXT) | instid1(VALU_DEP_1)
	v_mov_b32_dpp v4, v2 row_ror:8 row_mask:0xf bank_mask:0xf
	v_add_nc_u32_e32 v2, v2, v4
	ds_swizzle_b32 v4, v2 offset:swizzle(BROADCAST,32,15)
	s_wait_dscnt 0x0
	v_add_nc_u32_e32 v2, v2, v4
	ds_bpermute_b32 v2, v14, v2
	s_and_saveexec_b32 s6, s4
	s_cbranch_execz .LBB1_27
; %bb.26:                               ;   in Loop: Header=BB1_3 Depth=1
	s_wait_dscnt 0x0
	ds_store_b32 v15, v2
.LBB1_27:                               ;   in Loop: Header=BB1_3 Depth=1
	s_or_b32 exec_lo, exec_lo, s6
	s_wait_dscnt 0x0
	s_barrier_signal -1
	s_barrier_wait -1
	s_and_saveexec_b32 s6, s3
	s_cbranch_execz .LBB1_2
; %bb.28:                               ;   in Loop: Header=BB1_3 Depth=1
	ds_load_b32 v2, v17
	s_wait_dscnt 0x0
	ds_bpermute_b32 v4, v18, v2
	s_wait_dscnt 0x0
	v_add_nc_u32_e32 v2, v4, v2
	ds_bpermute_b32 v4, v19, v2
	s_wait_dscnt 0x0
	v_add_nc_u32_e32 v2, v4, v2
	;; [unrolled: 3-line block ×3, first 2 shown]
	s_branch .LBB1_2
.LBB1_29:
	v_cmp_eq_u32_e32 vcc_lo, 0, v0
	s_delay_alu instid0(VALU_DEP_2) | instskip(SKIP_2) | instid1(SALU_CYCLE_1)
	v_cmp_ne_u32_e64 s2, 0, v1
	s_mov_b32 s3, 0
	s_and_b32 s2, vcc_lo, s2
	s_and_saveexec_b32 s4, s2
	s_cbranch_execz .LBB1_34
; %bb.30:
	s_mov_b32 s2, exec_lo
.LBB1_31:                               ; =>This Inner Loop Header: Depth=1
	s_delay_alu instid0(SALU_CYCLE_1) | instskip(NEXT) | instid1(SALU_CYCLE_1)
	s_ctz_i32_b32 s4, s2
	v_readlane_b32 s5, v1, s4
	s_lshl_b32 s4, 1, s4
	s_delay_alu instid0(SALU_CYCLE_1)
	s_and_not1_b32 s2, s2, s4
	s_add_co_i32 s3, s3, s5
	s_cmp_lg_u32 s2, 0
	s_cbranch_scc1 .LBB1_31
; %bb.32:
	v_mbcnt_lo_u32_b32 v0, exec_lo, 0
	s_mov_b32 s2, exec_lo
	s_delay_alu instid0(VALU_DEP_1)
	v_cmpx_eq_u32_e32 0, v0
	s_xor_b32 s2, exec_lo, s2
	s_cbranch_execz .LBB1_34
; %bb.33:
	s_load_b64 s[0:1], s[0:1], 0x20
	v_dual_mov_b32 v0, 0 :: v_dual_mov_b32 v1, s3
	s_wait_xcnt 0x0
	s_wait_kmcnt 0x0
	global_atomic_add_u32 v0, v1, s[0:1] scope:SCOPE_DEV
.LBB1_34:
	s_endpgm
	.section	.rodata,"a",@progbits
	.p2align	6, 0x0
	.amdhsa_kernel _Z16accuracy_kernel2iiiPKfPKiPi
		.amdhsa_group_segment_fixed_size 40
		.amdhsa_private_segment_fixed_size 0
		.amdhsa_kernarg_size 296
		.amdhsa_user_sgpr_count 2
		.amdhsa_user_sgpr_dispatch_ptr 0
		.amdhsa_user_sgpr_queue_ptr 0
		.amdhsa_user_sgpr_kernarg_segment_ptr 1
		.amdhsa_user_sgpr_dispatch_id 0
		.amdhsa_user_sgpr_kernarg_preload_length 0
		.amdhsa_user_sgpr_kernarg_preload_offset 0
		.amdhsa_user_sgpr_private_segment_size 0
		.amdhsa_wavefront_size32 1
		.amdhsa_uses_dynamic_stack 0
		.amdhsa_enable_private_segment 0
		.amdhsa_system_sgpr_workgroup_id_x 1
		.amdhsa_system_sgpr_workgroup_id_y 0
		.amdhsa_system_sgpr_workgroup_id_z 0
		.amdhsa_system_sgpr_workgroup_info 0
		.amdhsa_system_vgpr_workitem_id 0
		.amdhsa_next_free_vgpr 30
		.amdhsa_next_free_sgpr 24
		.amdhsa_named_barrier_count 0
		.amdhsa_reserve_vcc 1
		.amdhsa_float_round_mode_32 0
		.amdhsa_float_round_mode_16_64 0
		.amdhsa_float_denorm_mode_32 3
		.amdhsa_float_denorm_mode_16_64 3
		.amdhsa_fp16_overflow 0
		.amdhsa_memory_ordered 1
		.amdhsa_forward_progress 1
		.amdhsa_inst_pref_size 12
		.amdhsa_round_robin_scheduling 0
		.amdhsa_exception_fp_ieee_invalid_op 0
		.amdhsa_exception_fp_denorm_src 0
		.amdhsa_exception_fp_ieee_div_zero 0
		.amdhsa_exception_fp_ieee_overflow 0
		.amdhsa_exception_fp_ieee_underflow 0
		.amdhsa_exception_fp_ieee_inexact 0
		.amdhsa_exception_int_div_zero 0
	.end_amdhsa_kernel
	.text
.Lfunc_end1:
	.size	_Z16accuracy_kernel2iiiPKfPKiPi, .Lfunc_end1-_Z16accuracy_kernel2iiiPKfPKiPi
                                        ; -- End function
	.set _Z16accuracy_kernel2iiiPKfPKiPi.num_vgpr, 30
	.set _Z16accuracy_kernel2iiiPKfPKiPi.num_agpr, 0
	.set _Z16accuracy_kernel2iiiPKfPKiPi.numbered_sgpr, 24
	.set _Z16accuracy_kernel2iiiPKfPKiPi.num_named_barrier, 0
	.set _Z16accuracy_kernel2iiiPKfPKiPi.private_seg_size, 0
	.set _Z16accuracy_kernel2iiiPKfPKiPi.uses_vcc, 1
	.set _Z16accuracy_kernel2iiiPKfPKiPi.uses_flat_scratch, 0
	.set _Z16accuracy_kernel2iiiPKfPKiPi.has_dyn_sized_stack, 0
	.set _Z16accuracy_kernel2iiiPKfPKiPi.has_recursion, 0
	.set _Z16accuracy_kernel2iiiPKfPKiPi.has_indirect_call, 0
	.section	.AMDGPU.csdata,"",@progbits
; Kernel info:
; codeLenInByte = 1424
; TotalNumSgprs: 26
; NumVgprs: 30
; ScratchSize: 0
; MemoryBound: 0
; FloatMode: 240
; IeeeMode: 1
; LDSByteSize: 40 bytes/workgroup (compile time only)
; SGPRBlocks: 0
; VGPRBlocks: 1
; NumSGPRsForWavesPerEU: 26
; NumVGPRsForWavesPerEU: 30
; NamedBarCnt: 0
; Occupancy: 16
; WaveLimiterHint : 1
; COMPUTE_PGM_RSRC2:SCRATCH_EN: 0
; COMPUTE_PGM_RSRC2:USER_SGPR: 2
; COMPUTE_PGM_RSRC2:TRAP_HANDLER: 0
; COMPUTE_PGM_RSRC2:TGID_X_EN: 1
; COMPUTE_PGM_RSRC2:TGID_Y_EN: 0
; COMPUTE_PGM_RSRC2:TGID_Z_EN: 0
; COMPUTE_PGM_RSRC2:TIDIG_COMP_CNT: 0
	.text
	.p2alignl 7, 3214868480
	.fill 96, 4, 3214868480
	.section	.AMDGPU.gpr_maximums,"",@progbits
	.set amdgpu.max_num_vgpr, 0
	.set amdgpu.max_num_agpr, 0
	.set amdgpu.max_num_sgpr, 0
	.text
	.type	__hip_cuid_b3d3d48baac2d196,@object ; @__hip_cuid_b3d3d48baac2d196
	.section	.bss,"aw",@nobits
	.globl	__hip_cuid_b3d3d48baac2d196
__hip_cuid_b3d3d48baac2d196:
	.byte	0                               ; 0x0
	.size	__hip_cuid_b3d3d48baac2d196, 1

	.ident	"AMD clang version 22.0.0git (https://github.com/RadeonOpenCompute/llvm-project roc-7.2.4 26084 f58b06dce1f9c15707c5f808fd002e18c2accf7e)"
	.section	".note.GNU-stack","",@progbits
	.addrsig
	.addrsig_sym __hip_cuid_b3d3d48baac2d196
	.amdgpu_metadata
---
amdhsa.kernels:
  - .args:
      - .offset:         0
        .size:           4
        .value_kind:     by_value
      - .offset:         4
        .size:           4
        .value_kind:     by_value
      - .offset:         8
        .size:           4
        .value_kind:     by_value
      - .actual_access:  read_only
        .address_space:  global
        .offset:         16
        .size:           8
        .value_kind:     global_buffer
      - .actual_access:  read_only
        .address_space:  global
        .offset:         24
        .size:           8
        .value_kind:     global_buffer
      - .address_space:  global
        .offset:         32
        .size:           8
        .value_kind:     global_buffer
      - .offset:         40
        .size:           4
        .value_kind:     hidden_block_count_x
      - .offset:         44
        .size:           4
        .value_kind:     hidden_block_count_y
      - .offset:         48
        .size:           4
        .value_kind:     hidden_block_count_z
      - .offset:         52
        .size:           2
        .value_kind:     hidden_group_size_x
      - .offset:         54
        .size:           2
        .value_kind:     hidden_group_size_y
      - .offset:         56
        .size:           2
        .value_kind:     hidden_group_size_z
      - .offset:         58
        .size:           2
        .value_kind:     hidden_remainder_x
      - .offset:         60
        .size:           2
        .value_kind:     hidden_remainder_y
      - .offset:         62
        .size:           2
        .value_kind:     hidden_remainder_z
      - .offset:         80
        .size:           8
        .value_kind:     hidden_global_offset_x
      - .offset:         88
        .size:           8
        .value_kind:     hidden_global_offset_y
      - .offset:         96
        .size:           8
        .value_kind:     hidden_global_offset_z
      - .offset:         104
        .size:           2
        .value_kind:     hidden_grid_dims
    .group_segment_fixed_size: 32
    .kernarg_segment_align: 8
    .kernarg_segment_size: 296
    .language:       OpenCL C
    .language_version:
      - 2
      - 0
    .max_flat_workgroup_size: 1024
    .name:           _Z15accuracy_kerneliiiPKfPKiPi
    .private_segment_fixed_size: 0
    .sgpr_count:     28
    .sgpr_spill_count: 0
    .symbol:         _Z15accuracy_kerneliiiPKfPKiPi.kd
    .uniform_work_group_size: 1
    .uses_dynamic_stack: false
    .vgpr_count:     11
    .vgpr_spill_count: 0
    .wavefront_size: 32
  - .args:
      - .offset:         0
        .size:           4
        .value_kind:     by_value
      - .offset:         4
        .size:           4
        .value_kind:     by_value
      - .offset:         8
        .size:           4
        .value_kind:     by_value
      - .actual_access:  read_only
        .address_space:  global
        .offset:         16
        .size:           8
        .value_kind:     global_buffer
      - .actual_access:  read_only
        .address_space:  global
        .offset:         24
        .size:           8
        .value_kind:     global_buffer
      - .address_space:  global
        .offset:         32
        .size:           8
        .value_kind:     global_buffer
      - .offset:         40
        .size:           4
        .value_kind:     hidden_block_count_x
      - .offset:         44
        .size:           4
        .value_kind:     hidden_block_count_y
      - .offset:         48
        .size:           4
        .value_kind:     hidden_block_count_z
      - .offset:         52
        .size:           2
        .value_kind:     hidden_group_size_x
      - .offset:         54
        .size:           2
        .value_kind:     hidden_group_size_y
      - .offset:         56
        .size:           2
        .value_kind:     hidden_group_size_z
      - .offset:         58
        .size:           2
        .value_kind:     hidden_remainder_x
      - .offset:         60
        .size:           2
        .value_kind:     hidden_remainder_y
      - .offset:         62
        .size:           2
        .value_kind:     hidden_remainder_z
      - .offset:         80
        .size:           8
        .value_kind:     hidden_global_offset_x
      - .offset:         88
        .size:           8
        .value_kind:     hidden_global_offset_y
      - .offset:         96
        .size:           8
        .value_kind:     hidden_global_offset_z
      - .offset:         104
        .size:           2
        .value_kind:     hidden_grid_dims
    .group_segment_fixed_size: 40
    .kernarg_segment_align: 8
    .kernarg_segment_size: 296
    .language:       OpenCL C
    .language_version:
      - 2
      - 0
    .max_flat_workgroup_size: 1024
    .name:           _Z16accuracy_kernel2iiiPKfPKiPi
    .private_segment_fixed_size: 0
    .sgpr_count:     26
    .sgpr_spill_count: 0
    .symbol:         _Z16accuracy_kernel2iiiPKfPKiPi.kd
    .uniform_work_group_size: 1
    .uses_dynamic_stack: false
    .vgpr_count:     30
    .vgpr_spill_count: 0
    .wavefront_size: 32
amdhsa.target:   amdgcn-amd-amdhsa--gfx1250
amdhsa.version:
  - 1
  - 2
...

	.end_amdgpu_metadata
